;; amdgpu-corpus repo=ROCm/rocFFT kind=compiled arch=gfx906 opt=O3
	.text
	.amdgcn_target "amdgcn-amd-amdhsa--gfx906"
	.amdhsa_code_object_version 6
	.protected	bluestein_single_back_len1536_dim1_sp_op_CI_CI ; -- Begin function bluestein_single_back_len1536_dim1_sp_op_CI_CI
	.globl	bluestein_single_back_len1536_dim1_sp_op_CI_CI
	.p2align	8
	.type	bluestein_single_back_len1536_dim1_sp_op_CI_CI,@function
bluestein_single_back_len1536_dim1_sp_op_CI_CI: ; @bluestein_single_back_len1536_dim1_sp_op_CI_CI
; %bb.0:
	s_load_dwordx4 s[0:3], s[4:5], 0x28
	s_mov_b32 s7, 0
	s_waitcnt lgkmcnt(0)
	v_mov_b32_e32 v1, s0
	v_mov_b32_e32 v2, s1
	v_cmp_lt_u64_e32 vcc, s[6:7], v[1:2]
	s_and_saveexec_b64 s[0:1], vcc
	s_cbranch_execz .LBB0_23
; %bb.1:
	s_load_dwordx2 s[12:13], s[4:5], 0x0
	s_load_dwordx2 s[14:15], s[4:5], 0x38
	v_mov_b32_e32 v70, s7
	s_movk_i32 s0, 0x60
	v_mov_b32_e32 v69, s6
	v_cmp_gt_u32_e32 vcc, s0, v0
	v_lshlrev_b32_e32 v74, 3, v0
	s_and_saveexec_b64 s[6:7], vcc
	s_cbranch_execz .LBB0_3
; %bb.2:
	s_load_dwordx2 s[0:1], s[4:5], 0x18
	v_or_b32_e32 v9, 0x180, v0
	v_mov_b32_e32 v57, 0x600
	s_waitcnt lgkmcnt(0)
	v_mov_b32_e32 v30, s13
	v_or_b32_e32 v59, 0x480, v0
	s_load_dwordx4 s[8:11], s[0:1], 0x0
	s_waitcnt lgkmcnt(0)
	v_mad_u64_u32 v[1:2], s[0:1], s10, v69, 0
	v_mad_u64_u32 v[3:4], s[0:1], s8, v0, 0
	s_mul_i32 s10, s9, 0x600
	v_mad_u64_u32 v[5:6], s[0:1], s11, v69, v[2:3]
	s_movk_i32 s11, 0x2000
	v_mad_u64_u32 v[6:7], s[0:1], s9, v0, v[4:5]
	v_mov_b32_e32 v2, v5
	v_lshlrev_b64 v[1:2], 3, v[1:2]
	v_mov_b32_e32 v4, v6
	v_mov_b32_e32 v7, s3
	v_lshlrev_b64 v[3:4], 3, v[3:4]
	v_add_co_u32_e64 v55, s[0:1], s2, v1
	v_addc_co_u32_e64 v56, s[0:1], v7, v2, s[0:1]
	v_add_co_u32_e64 v1, s[0:1], v55, v3
	v_addc_co_u32_e64 v2, s[0:1], v56, v4, s[0:1]
	s_mul_i32 s0, s9, 0x300
	s_mul_hi_u32 s3, s8, 0x300
	s_add_i32 s3, s3, s0
	s_mul_i32 s2, s8, 0x300
	v_mov_b32_e32 v4, s3
	v_add_co_u32_e64 v3, s[0:1], s2, v1
	v_addc_co_u32_e64 v4, s[0:1], v2, v4, s[0:1]
	v_mad_u64_u32 v[5:6], s[0:1], s8, v9, 0
	v_mov_b32_e32 v8, s3
	v_add_co_u32_e64 v7, s[0:1], s2, v3
	v_addc_co_u32_e64 v8, s[0:1], v4, v8, s[0:1]
	v_mad_u64_u32 v[9:10], s[0:1], s9, v9, v[6:7]
	v_mov_b32_e32 v11, s3
	v_add_co_u32_e64 v10, s[0:1], s2, v7
	v_mov_b32_e32 v6, v9
	v_lshlrev_b64 v[5:6], 3, v[5:6]
	v_addc_co_u32_e64 v11, s[0:1], v8, v11, s[0:1]
	v_add_co_u32_e64 v5, s[0:1], v55, v5
	v_addc_co_u32_e64 v6, s[0:1], v56, v6, s[0:1]
	global_load_dwordx2 v[12:13], v[5:6], off
	global_load_dwordx2 v[14:15], v[1:2], off
	;; [unrolled: 1-line block ×5, first 2 shown]
	global_load_dwordx2 v[22:23], v74, s[12:13]
	global_load_dwordx2 v[24:25], v74, s[12:13] offset:768
	global_load_dwordx2 v[26:27], v74, s[12:13] offset:1536
	;; [unrolled: 1-line block ×3, first 2 shown]
	v_mad_u64_u32 v[1:2], s[0:1], s8, v57, v[10:11]
	v_add_co_u32_e64 v54, s[0:1], s12, v74
	v_addc_co_u32_e64 v58, s[0:1], 0, v30, s[0:1]
	v_add_u32_e32 v2, s10, v2
	global_load_dwordx2 v[3:4], v[1:2], off
	global_load_dwordx2 v[5:6], v74, s[12:13] offset:3072
	global_load_dwordx2 v[7:8], v74, s[12:13] offset:3840
	v_mov_b32_e32 v9, s3
	v_add_co_u32_e64 v1, s[0:1], s2, v1
	v_addc_co_u32_e64 v2, s[0:1], v2, v9, s[0:1]
	s_movk_i32 s0, 0x1000
	v_add_co_u32_e64 v30, s[0:1], s0, v54
	v_addc_co_u32_e64 v31, s[0:1], 0, v58, s[0:1]
	global_load_dwordx2 v[9:10], v[1:2], off
	v_mov_b32_e32 v11, s3
	v_add_co_u32_e64 v1, s[0:1], s2, v1
	v_addc_co_u32_e64 v2, s[0:1], v2, v11, s[0:1]
	global_load_dwordx2 v[32:33], v[30:31], off offset:512
	global_load_dwordx2 v[34:35], v[30:31], off offset:1280
	;; [unrolled: 1-line block ×4, first 2 shown]
	s_nop 0
	global_load_dwordx2 v[30:31], v[1:2], off
	v_add_co_u32_e64 v1, s[0:1], s2, v1
	v_addc_co_u32_e64 v2, s[0:1], v2, v11, s[0:1]
	v_or_b32_e32 v11, 0x1800, v74
	global_load_dwordx2 v[40:41], v[1:2], off
	global_load_dwordx2 v[42:43], v11, s[12:13]
	v_mov_b32_e32 v11, s3
	v_add_co_u32_e64 v1, s[0:1], s2, v1
	v_addc_co_u32_e64 v2, s[0:1], v2, v11, s[0:1]
	global_load_dwordx2 v[44:45], v[1:2], off
	v_add_co_u32_e64 v1, s[0:1], s2, v1
	v_addc_co_u32_e64 v2, s[0:1], v2, v11, s[0:1]
	v_mad_u64_u32 v[48:49], s[0:1], s8, v59, 0
	global_load_dwordx2 v[46:47], v[1:2], off
	v_add_co_u32_e64 v1, s[0:1], s2, v1
	v_addc_co_u32_e64 v2, s[0:1], v2, v11, s[0:1]
	v_mov_b32_e32 v11, v49
	global_load_dwordx2 v[50:51], v[1:2], off
	s_waitcnt vmcnt(22)
	v_mad_u64_u32 v[52:53], s[0:1], s9, v59, v[11:12]
	v_add_co_u32_e64 v53, s[0:1], s11, v54
	v_mov_b32_e32 v49, v52
	v_lshlrev_b64 v[48:49], 3, v[48:49]
	v_addc_co_u32_e64 v54, s[0:1], 0, v58, s[0:1]
	v_add_co_u32_e64 v48, s[0:1], v55, v48
	v_addc_co_u32_e64 v49, s[0:1], v56, v49, s[0:1]
	v_mad_u64_u32 v[1:2], s[0:1], s8, v57, v[1:2]
	v_lshlrev_b32_e32 v11, 3, v59
	global_load_dwordx2 v[55:56], v[53:54], off offset:256
	global_load_dwordx2 v[57:58], v[48:49], off
	v_add_u32_e32 v2, s10, v2
	global_load_dwordx2 v[48:49], v11, s[12:13]
	global_load_dwordx2 v[59:60], v[1:2], off
	global_load_dwordx2 v[61:62], v[53:54], off offset:1792
	v_mov_b32_e32 v11, s3
	v_add_co_u32_e64 v1, s[0:1], s2, v1
	v_addc_co_u32_e64 v2, s[0:1], v2, v11, s[0:1]
	global_load_dwordx2 v[63:64], v[1:2], off
	global_load_dwordx2 v[65:66], v[53:54], off offset:2560
	v_add_co_u32_e64 v1, s[0:1], s2, v1
	v_addc_co_u32_e64 v2, s[0:1], v2, v11, s[0:1]
	global_load_dwordx2 v[67:68], v[1:2], off
	global_load_dwordx2 v[70:71], v[53:54], off offset:3328
	s_waitcnt vmcnt(26)
	v_mul_f32_e32 v1, v14, v23
	v_fma_f32 v2, v15, v22, -v1
	v_mul_f32_e32 v1, v15, v23
	v_fmac_f32_e32 v1, v14, v22
	s_waitcnt vmcnt(25)
	v_mul_f32_e32 v14, v16, v25
	v_fma_f32 v15, v17, v24, -v14
	v_mul_f32_e32 v14, v17, v25
	v_fmac_f32_e32 v14, v16, v24
	s_waitcnt vmcnt(24)
	v_mul_f32_e32 v16, v19, v27
	v_mul_f32_e32 v17, v18, v27
	ds_write2_b64 v74, v[1:2], v[14:15] offset1:96
	s_waitcnt vmcnt(23)
	v_mul_f32_e32 v1, v21, v29
	v_mul_f32_e32 v2, v20, v29
	v_add_u32_e32 v52, 0x400, v74
	v_fmac_f32_e32 v16, v18, v26
	v_fma_f32 v17, v19, v26, -v17
	v_fmac_f32_e32 v1, v20, v28
	v_fma_f32 v2, v21, v28, -v2
	s_waitcnt vmcnt(21)
	v_mul_f32_e32 v11, v13, v6
	ds_write2_b64 v52, v[16:17], v[1:2] offset0:64 offset1:160
	v_mul_f32_e32 v1, v12, v6
	v_fmac_f32_e32 v11, v12, v5
	v_fma_f32 v12, v13, v5, -v1
	s_waitcnt vmcnt(20)
	v_mul_f32_e32 v1, v4, v8
	v_mul_f32_e32 v2, v3, v8
	v_fmac_f32_e32 v1, v3, v7
	v_fma_f32 v2, v4, v7, -v2
	v_add_u32_e32 v3, 0x800, v74
	ds_write2_b64 v3, v[11:12], v[1:2] offset0:128 offset1:224
	s_waitcnt vmcnt(14)
	v_mul_f32_e32 v3, v30, v35
	v_mul_f32_e32 v1, v10, v33
	;; [unrolled: 1-line block ×3, first 2 shown]
	v_fma_f32 v4, v31, v34, -v3
	v_mul_f32_e32 v3, v31, v35
	v_fmac_f32_e32 v1, v9, v32
	v_fma_f32 v2, v10, v32, -v2
	v_fmac_f32_e32 v3, v30, v34
	v_add_u32_e32 v5, 0x1000, v74
	ds_write2_b64 v5, v[1:2], v[3:4] offset0:64 offset1:160
	s_waitcnt vmcnt(12)
	v_mul_f32_e32 v1, v41, v43
	v_mul_f32_e32 v2, v40, v43
	s_waitcnt vmcnt(11)
	v_mul_f32_e32 v3, v45, v37
	v_mul_f32_e32 v4, v44, v37
	v_fmac_f32_e32 v1, v40, v42
	v_fma_f32 v2, v41, v42, -v2
	v_fmac_f32_e32 v3, v44, v36
	v_fma_f32 v4, v45, v36, -v4
	v_add_u32_e32 v5, 0x1800, v74
	ds_write2_b64 v5, v[1:2], v[3:4] offset1:96
	s_waitcnt vmcnt(10)
	v_mul_f32_e32 v1, v47, v39
	v_mul_f32_e32 v2, v46, v39
	v_fmac_f32_e32 v1, v46, v38
	v_fma_f32 v2, v47, v38, -v2
	v_add_u32_e32 v5, 0x1c00, v74
	s_waitcnt vmcnt(8)
	v_mul_f32_e32 v3, v51, v56
	v_mul_f32_e32 v4, v50, v56
	v_fmac_f32_e32 v3, v50, v55
	v_fma_f32 v4, v51, v55, -v4
	ds_write2_b64 v5, v[1:2], v[3:4] offset0:64 offset1:160
	s_waitcnt vmcnt(6)
	v_mul_f32_e32 v1, v58, v49
	v_mul_f32_e32 v2, v57, v49
	s_waitcnt vmcnt(4)
	v_mul_f32_e32 v3, v60, v62
	v_mul_f32_e32 v4, v59, v62
	v_fmac_f32_e32 v1, v57, v48
	v_fma_f32 v2, v58, v48, -v2
	v_fmac_f32_e32 v3, v59, v61
	v_fma_f32 v4, v60, v61, -v4
	v_add_u32_e32 v5, 0x2000, v74
	ds_write2_b64 v5, v[1:2], v[3:4] offset0:128 offset1:224
	s_waitcnt vmcnt(2)
	v_mul_f32_e32 v1, v64, v66
	v_mul_f32_e32 v2, v63, v66
	s_waitcnt vmcnt(0)
	v_mul_f32_e32 v3, v68, v71
	v_mul_f32_e32 v4, v67, v71
	v_fmac_f32_e32 v1, v63, v65
	v_fma_f32 v2, v64, v65, -v2
	v_fmac_f32_e32 v3, v67, v70
	v_fma_f32 v4, v68, v70, -v4
	v_add_u32_e32 v5, 0x2800, v74
	ds_write2_b64 v5, v[1:2], v[3:4] offset0:64 offset1:160
.LBB0_3:
	s_or_b64 exec, exec, s[6:7]
	s_waitcnt lgkmcnt(0)
	s_barrier
	s_waitcnt lgkmcnt(0)
                                        ; implicit-def: $vgpr29
                                        ; implicit-def: $vgpr27
                                        ; implicit-def: $vgpr19
                                        ; implicit-def: $vgpr23
                                        ; implicit-def: $vgpr31
                                        ; implicit-def: $vgpr7
                                        ; implicit-def: $vgpr15
                                        ; implicit-def: $vgpr3
                                        ; implicit-def: $vgpr11
	s_and_saveexec_b64 s[0:1], vcc
	s_cbranch_execz .LBB0_5
; %bb.4:
	v_add_u32_e32 v5, 0x800, v74
	v_add_u32_e32 v17, 0x1800, v74
	;; [unrolled: 1-line block ×3, first 2 shown]
	ds_read2_b64 v[13:16], v5 offset0:128 offset1:224
	v_add_u32_e32 v5, 0x1000, v74
	ds_read2_b64 v[21:24], v17 offset0:96 offset1:192
	v_add_u32_e32 v17, 0x2000, v74
	v_add_u32_e32 v25, 0x2400, v74
	ds_read2_b64 v[9:12], v74 offset1:96
	ds_read2_b64 v[1:4], v1 offset0:64 offset1:160
	ds_read2_b64 v[5:8], v5 offset0:64 offset1:160
	;; [unrolled: 1-line block ×4, first 2 shown]
	ds_read_b64 v[31:32], v74 offset:6144
	ds_read_b64 v[29:30], v74 offset:11520
.LBB0_5:
	s_or_b64 exec, exec, s[0:1]
	s_waitcnt lgkmcnt(1)
	v_sub_f32_e32 v31, v9, v31
	v_sub_f32_e32 v32, v10, v32
	;; [unrolled: 1-line block ×4, first 2 shown]
	v_fma_f32 v13, v13, 2.0, -v19
	v_fma_f32 v14, v14, 2.0, -v20
	v_sub_f32_e32 v23, v1, v23
	v_sub_f32_e32 v24, v2, v24
	;; [unrolled: 1-line block ×9, first 2 shown]
	v_add_f32_e32 v19, v19, v32
	v_fma_f32 v5, v5, 2.0, -v27
	v_fma_f32 v6, v6, 2.0, -v28
	;; [unrolled: 1-line block ×4, first 2 shown]
	v_sub_f32_e32 v17, v3, v17
	v_sub_f32_e32 v18, v4, v18
	s_waitcnt lgkmcnt(0)
	v_sub_f32_e32 v29, v7, v29
	v_sub_f32_e32 v30, v8, v30
	;; [unrolled: 1-line block ×3, first 2 shown]
	v_add_f32_e32 v27, v27, v24
	v_sub_f32_e32 v26, v21, v26
	v_add_f32_e32 v25, v25, v22
	v_mov_b32_e32 v51, v20
	v_mov_b32_e32 v52, v19
	v_fma_f32 v11, v11, 2.0, -v21
	v_fma_f32 v12, v12, 2.0, -v22
	;; [unrolled: 1-line block ×6, first 2 shown]
	v_sub_f32_e32 v30, v17, v30
	v_add_f32_e32 v29, v29, v18
	v_fmac_f32_e32 v51, 0x3f3504f3, v28
	v_fmac_f32_e32 v52, 0x3f3504f3, v27
	v_fma_f32 v1, v1, 2.0, -v23
	v_fma_f32 v2, v2, 2.0, -v24
	;; [unrolled: 1-line block ×8, first 2 shown]
	v_fmac_f32_e32 v51, 0xbf3504f3, v27
	v_fmac_f32_e32 v52, 0x3f3504f3, v28
	v_mov_b32_e32 v27, v21
	v_mov_b32_e32 v28, v22
	v_fma_f32 v9, v9, 2.0, -v31
	v_fma_f32 v10, v10, 2.0, -v32
	;; [unrolled: 1-line block ×4, first 2 shown]
	v_fmac_f32_e32 v27, 0xbf3504f3, v17
	v_fmac_f32_e32 v28, 0xbf3504f3, v18
	v_mov_b32_e32 v43, v31
	v_mov_b32_e32 v44, v32
	v_fmac_f32_e32 v27, 0xbf3504f3, v18
	v_fmac_f32_e32 v28, 0x3f3504f3, v17
	v_sub_f32_e32 v13, v9, v13
	v_sub_f32_e32 v14, v10, v14
	;; [unrolled: 1-line block ×4, first 2 shown]
	v_fmac_f32_e32 v43, 0xbf3504f3, v23
	v_fmac_f32_e32 v44, 0xbf3504f3, v24
	v_fma_f32 v17, v21, 2.0, -v27
	v_fma_f32 v18, v22, 2.0, -v28
	v_mov_b32_e32 v21, v26
	v_mov_b32_e32 v22, v25
	v_fma_f32 v1, v1, 2.0, -v5
	v_fma_f32 v2, v2, 2.0, -v6
	v_sub_f32_e32 v15, v11, v15
	v_sub_f32_e32 v16, v12, v16
	;; [unrolled: 1-line block ×4, first 2 shown]
	v_fmac_f32_e32 v43, 0xbf3504f3, v24
	v_fmac_f32_e32 v44, 0x3f3504f3, v23
	v_sub_f32_e32 v6, v13, v6
	v_add_f32_e32 v5, v5, v14
	v_fmac_f32_e32 v21, 0x3f3504f3, v30
	v_fmac_f32_e32 v22, 0x3f3504f3, v29
	s_load_dwordx2 s[0:1], s[4:5], 0x8
	v_fma_f32 v9, v9, 2.0, -v13
	v_fma_f32 v10, v10, 2.0, -v14
	;; [unrolled: 1-line block ×12, first 2 shown]
	v_sub_f32_e32 v8, v15, v8
	v_add_f32_e32 v7, v7, v16
	v_fmac_f32_e32 v21, 0xbf3504f3, v29
	v_fmac_f32_e32 v22, 0x3f3504f3, v30
	v_sub_f32_e32 v1, v9, v1
	v_sub_f32_e32 v2, v10, v2
	;; [unrolled: 1-line block ×4, first 2 shown]
	v_fma_f32 v15, v15, 2.0, -v8
	v_fma_f32 v16, v16, 2.0, -v7
	;; [unrolled: 1-line block ×4, first 2 shown]
	v_mov_b32_e32 v39, v23
	v_mov_b32_e32 v40, v24
	;; [unrolled: 1-line block ×12, first 2 shown]
	v_fma_f32 v9, v9, 2.0, -v1
	v_fma_f32 v10, v10, 2.0, -v2
	;; [unrolled: 1-line block ×4, first 2 shown]
	v_fmac_f32_e32 v39, 0xbf6c835e, v17
	v_fmac_f32_e32 v40, 0xbf6c835e, v18
	;; [unrolled: 1-line block ×12, first 2 shown]
	v_sub_f32_e32 v37, v9, v11
	v_sub_f32_e32 v38, v10, v12
	v_fmac_f32_e32 v39, 0xbec3ef15, v18
	v_fmac_f32_e32 v40, 0x3ec3ef15, v17
	;; [unrolled: 1-line block ×6, first 2 shown]
	v_sub_f32_e32 v53, v1, v4
	v_add_f32_e32 v54, v3, v2
	v_fmac_f32_e32 v55, 0xbf6c835e, v28
	v_fmac_f32_e32 v56, 0x3f6c835e, v27
	;; [unrolled: 1-line block ×6, first 2 shown]
	v_fma_f32 v29, v9, 2.0, -v37
	v_fma_f32 v30, v10, 2.0, -v38
	;; [unrolled: 1-line block ×16, first 2 shown]
	v_lshlrev_b32_e32 v77, 7, v0
	s_waitcnt lgkmcnt(0)
	s_barrier
	s_and_saveexec_b64 s[2:3], vcc
	s_cbranch_execz .LBB0_7
; %bb.6:
	ds_write_b128 v77, v[29:32]
	ds_write_b128 v77, v[33:36] offset:16
	ds_write_b128 v77, v[41:44] offset:32
	;; [unrolled: 1-line block ×7, first 2 shown]
.LBB0_7:
	s_or_b64 exec, exec, s[2:3]
	s_load_dwordx2 s[2:3], s[4:5], 0x20
	s_waitcnt lgkmcnt(0)
	s_barrier
	s_and_saveexec_b64 s[4:5], vcc
	s_cbranch_execz .LBB0_9
; %bb.8:
	v_add_u32_e32 v1, 0x400, v74
	ds_read2_b64 v[33:36], v1 offset0:64 offset1:160
	v_add_u32_e32 v1, 0x800, v74
	ds_read2_b64 v[41:44], v1 offset0:128 offset1:224
	;; [unrolled: 2-line block ×3, first 2 shown]
	v_add_u32_e32 v1, 0x1800, v74
	v_add_u32_e32 v5, 0x2400, v74
	ds_read2_b64 v[1:4], v1 offset0:96 offset1:192
	ds_read2_b64 v[5:8], v5 offset0:96 offset1:192
	ds_read2_b64 v[29:32], v74 offset1:96
	v_add_u32_e32 v9, 0x2000, v74
	ds_read2_b64 v[9:12], v9 offset0:32 offset1:128
	ds_read_b64 v[37:38], v74 offset:6144
	ds_read_b64 v[59:60], v74 offset:11520
	s_waitcnt lgkmcnt(5)
	v_mov_b32_e32 v45, v3
	s_waitcnt lgkmcnt(4)
	v_mov_b32_e32 v57, v7
	v_mov_b32_e32 v58, v8
	;; [unrolled: 1-line block ×4, first 2 shown]
	s_waitcnt lgkmcnt(2)
	v_mov_b32_e32 v53, v11
	v_mov_b32_e32 v54, v12
	;; [unrolled: 1-line block ×7, first 2 shown]
.LBB0_9:
	s_or_b64 exec, exec, s[4:5]
	v_mov_b32_e32 v2, s1
	v_and_b32_e32 v75, 15, v0
	s_movk_i32 s4, 0x78
	v_mov_b32_e32 v1, s0
	v_mad_u64_u32 v[61:62], s[4:5], v75, s4, v[1:2]
	global_load_dwordx4 v[5:8], v[61:62], off
	global_load_dwordx4 v[1:4], v[61:62], off offset:16
	global_load_dwordx4 v[13:16], v[61:62], off offset:32
	;; [unrolled: 1-line block ×6, first 2 shown]
	global_load_dwordx2 v[70:71], v[61:62], off offset:112
	s_waitcnt vmcnt(0) lgkmcnt(0)
	s_barrier
	v_mul_f32_e32 v62, v33, v8
	v_mul_f32_e32 v63, v36, v2
	v_mul_f32_e32 v64, v35, v2
	v_mul_f32_e32 v65, v42, v4
	v_mul_f32_e32 v67, v44, v14
	v_mul_f32_e32 v79, v38, v12
	v_mul_f32_e32 v80, v37, v12
	v_mul_f32_e32 v87, v54, v20
	v_mul_f32_e32 v61, v34, v8
	v_mul_f32_e32 v66, v41, v4
	v_mul_f32_e32 v68, v43, v14
	v_mul_f32_e32 v72, v50, v16
	v_mul_f32_e32 v81, v40, v22
	v_mul_f32_e32 v83, v46, v24
	v_mul_f32_e32 v84, v45, v24
	v_mul_f32_e32 v88, v53, v20
	v_mul_f32_e32 v91, v58, v28
	v_mul_f32_e32 v96, v31, v6
	v_fmac_f32_e32 v62, v34, v7
	v_fma_f32 v34, v35, v1, -v63
	v_fmac_f32_e32 v64, v36, v1
	v_fma_f32 v35, v41, v3, -v65
	v_fma_f32 v36, v43, v13, -v67
	;; [unrolled: 1-line block ×3, first 2 shown]
	v_fmac_f32_e32 v80, v38, v11
	v_fma_f32 v43, v53, v19, -v87
	v_mul_f32_e32 v73, v49, v16
	v_mul_f32_e32 v82, v39, v22
	;; [unrolled: 1-line block ×6, first 2 shown]
	v_fmac_f32_e32 v66, v42, v3
	v_fma_f32 v41, v49, v15, -v72
	v_fma_f32 v38, v39, v21, -v81
	;; [unrolled: 1-line block ×3, first 2 shown]
	v_fmac_f32_e32 v84, v46, v23
	v_fmac_f32_e32 v88, v54, v19
	v_fma_f32 v45, v57, v27, -v91
	v_fmac_f32_e32 v96, v32, v5
	v_sub_f32_e32 v32, v29, v37
	v_sub_f32_e32 v37, v30, v80
	;; [unrolled: 1-line block ×3, first 2 shown]
	v_mul_f32_e32 v76, v52, v10
	v_mul_f32_e32 v78, v51, v10
	;; [unrolled: 1-line block ×3, first 2 shown]
	v_fma_f32 v33, v33, v7, -v61
	v_fmac_f32_e32 v73, v50, v15
	v_fmac_f32_e32 v82, v40, v21
	v_fma_f32 v40, v47, v17, -v85
	v_fmac_f32_e32 v86, v48, v17
	v_fmac_f32_e32 v92, v58, v27
	v_sub_f32_e32 v47, v66, v88
	v_sub_f32_e32 v48, v62, v84
	;; [unrolled: 1-line block ×3, first 2 shown]
	v_fma_f32 v35, v35, 2.0, -v43
	v_add_f32_e32 v43, v37, v43
	v_mul_f32_e32 v89, v56, v26
	v_fma_f32 v42, v51, v9, -v76
	v_fmac_f32_e32 v78, v52, v9
	v_fmac_f32_e32 v90, v56, v25
	v_sub_f32_e32 v39, v33, v39
	v_sub_f32_e32 v49, v73, v92
	v_fma_f32 v51, v30, 2.0, -v37
	v_fma_f32 v52, v66, 2.0, -v47
	v_sub_f32_e32 v47, v32, v47
	v_fma_f32 v56, v37, 2.0, -v43
	v_add_f32_e32 v37, v48, v45
	v_fmac_f32_e32 v68, v44, v13
	v_fma_f32 v44, v55, v25, -v89
	v_fma_f32 v50, v29, 2.0, -v32
	v_fma_f32 v41, v41, 2.0, -v45
	;; [unrolled: 1-line block ×3, first 2 shown]
	v_sub_f32_e32 v32, v39, v49
	v_fma_f32 v45, v48, 2.0, -v37
	v_mov_b32_e32 v30, v56
	v_mov_b32_e32 v61, v43
	v_mul_f32_e32 v94, v59, v71
	v_fma_f32 v31, v31, v5, -v95
	v_fma_f32 v33, v33, 2.0, -v39
	v_fma_f32 v53, v62, 2.0, -v48
	;; [unrolled: 1-line block ×3, first 2 shown]
	v_mov_b32_e32 v29, v55
	v_fmac_f32_e32 v30, 0xbf3504f3, v45
	v_mov_b32_e32 v48, v47
	v_fmac_f32_e32 v61, 0x3f3504f3, v37
	v_mul_f32_e32 v93, v60, v71
	v_fmac_f32_e32 v94, v60, v70
	v_fmac_f32_e32 v29, 0xbf3504f3, v39
	;; [unrolled: 1-line block ×5, first 2 shown]
	v_sub_f32_e32 v32, v31, v38
	v_sub_f32_e32 v39, v36, v44
	;; [unrolled: 1-line block ×3, first 2 shown]
	v_fma_f32 v46, v59, v70, -v93
	v_fmac_f32_e32 v29, 0xbf3504f3, v45
	v_fmac_f32_e32 v48, 0xbf3504f3, v37
	v_sub_f32_e32 v37, v96, v82
	v_fma_f32 v45, v68, 2.0, -v44
	v_sub_f32_e32 v40, v34, v40
	v_sub_f32_e32 v58, v78, v94
	v_sub_f32_e32 v44, v32, v44
	v_fma_f32 v54, v73, 2.0, -v49
	v_fma_f32 v31, v31, 2.0, -v32
	;; [unrolled: 1-line block ×3, first 2 shown]
	v_sub_f32_e32 v49, v64, v86
	v_sub_f32_e32 v46, v42, v46
	v_add_f32_e32 v62, v37, v39
	v_fma_f32 v39, v32, 2.0, -v44
	v_sub_f32_e32 v32, v40, v58
	v_fma_f32 v38, v96, 2.0, -v37
	v_fma_f32 v34, v34, 2.0, -v40
	;; [unrolled: 1-line block ×3, first 2 shown]
	v_add_f32_e32 v37, v49, v46
	v_fma_f32 v40, v40, 2.0, -v32
	v_mov_b32_e32 v63, v39
	v_fma_f32 v57, v64, 2.0, -v49
	v_fma_f32 v42, v42, 2.0, -v46
	;; [unrolled: 1-line block ×3, first 2 shown]
	v_fmac_f32_e32 v63, 0xbf3504f3, v40
	v_mov_b32_e32 v64, v60
	v_mov_b32_e32 v66, v62
	v_fmac_f32_e32 v64, 0xbf3504f3, v46
	v_fmac_f32_e32 v63, 0xbf3504f3, v46
	v_mov_b32_e32 v65, v44
	v_fmac_f32_e32 v66, 0x3f3504f3, v37
	v_sub_f32_e32 v46, v50, v35
	v_sub_f32_e32 v49, v51, v52
	v_fma_f32 v59, v78, 2.0, -v58
	v_fmac_f32_e32 v65, 0x3f3504f3, v32
	v_fmac_f32_e32 v66, 0x3f3504f3, v32
	v_fma_f32 v32, v50, 2.0, -v46
	v_fma_f32 v35, v51, 2.0, -v49
	v_sub_f32_e32 v41, v33, v41
	v_sub_f32_e32 v50, v53, v54
	;; [unrolled: 1-line block ×4, first 2 shown]
	v_fmac_f32_e32 v64, 0x3f3504f3, v40
	v_fmac_f32_e32 v65, 0xbf3504f3, v37
	v_fma_f32 v33, v33, 2.0, -v41
	v_fma_f32 v37, v53, 2.0, -v50
	v_sub_f32_e32 v45, v38, v45
	v_fma_f32 v36, v31, 2.0, -v51
	v_sub_f32_e32 v52, v57, v59
	v_fma_f32 v40, v34, 2.0, -v42
	v_fma_f32 v38, v38, 2.0, -v45
	;; [unrolled: 1-line block ×3, first 2 shown]
	v_sub_f32_e32 v33, v32, v33
	v_sub_f32_e32 v34, v35, v37
	;; [unrolled: 1-line block ×3, first 2 shown]
	v_fma_f32 v31, v32, 2.0, -v33
	v_fma_f32 v32, v35, 2.0, -v34
	v_sub_f32_e32 v53, v38, v53
	v_fma_f32 v35, v36, 2.0, -v54
	v_fma_f32 v36, v38, 2.0, -v53
	v_sub_f32_e32 v37, v31, v35
	v_fma_f32 v35, v55, 2.0, -v29
	v_sub_f32_e32 v38, v32, v36
	v_fma_f32 v36, v56, 2.0, -v30
	v_fma_f32 v55, v39, 2.0, -v63
	v_mov_b32_e32 v39, v35
	v_fma_f32 v56, v60, 2.0, -v64
	v_fmac_f32_e32 v39, 0xbf6c835e, v55
	v_mov_b32_e32 v40, v36
	v_fmac_f32_e32 v40, 0xbf6c835e, v56
	v_fmac_f32_e32 v39, 0xbec3ef15, v56
	v_add_f32_e32 v56, v49, v41
	v_fmac_f32_e32 v40, 0x3ec3ef15, v55
	v_sub_f32_e32 v55, v46, v50
	v_fma_f32 v58, v49, 2.0, -v56
	v_add_f32_e32 v67, v45, v42
	v_fma_f32 v57, v46, 2.0, -v55
	v_sub_f32_e32 v46, v51, v52
	v_fma_f32 v45, v45, 2.0, -v67
	v_mov_b32_e32 v42, v58
	v_fma_f32 v49, v51, 2.0, -v46
	v_mov_b32_e32 v41, v57
	v_fmac_f32_e32 v42, 0xbf3504f3, v45
	v_fmac_f32_e32 v41, 0xbf3504f3, v49
	;; [unrolled: 1-line block ×3, first 2 shown]
	v_fma_f32 v60, v43, 2.0, -v61
	v_sub_f32_e32 v49, v33, v53
	v_add_f32_e32 v50, v34, v54
	v_mov_b32_e32 v53, v55
	v_mov_b32_e32 v54, v56
	v_fmac_f32_e32 v41, 0xbf3504f3, v45
	v_fma_f32 v59, v47, 2.0, -v48
	v_fma_f32 v45, v44, 2.0, -v65
	;; [unrolled: 1-line block ×3, first 2 shown]
	v_mov_b32_e32 v44, v60
	v_fmac_f32_e32 v53, 0x3f3504f3, v46
	v_fmac_f32_e32 v54, 0x3f3504f3, v67
	v_mov_b32_e32 v43, v59
	v_fmac_f32_e32 v44, 0xbec3ef15, v47
	v_fmac_f32_e32 v53, 0xbf3504f3, v67
	;; [unrolled: 1-line block ×5, first 2 shown]
	v_fma_f32 v45, v55, 2.0, -v53
	v_fma_f32 v46, v56, 2.0, -v54
	v_mov_b32_e32 v55, v48
	v_mov_b32_e32 v56, v61
	v_mov_b32_e32 v51, v29
	v_mov_b32_e32 v52, v30
	v_fmac_f32_e32 v55, 0x3f6c835e, v65
	v_fmac_f32_e32 v56, 0x3f6c835e, v66
	;; [unrolled: 1-line block ×9, first 2 shown]
	v_fma_f32 v47, v48, 2.0, -v55
	v_fma_f32 v48, v61, 2.0, -v56
	v_lshlrev_b32_e32 v78, 4, v0
	s_and_saveexec_b64 s[4:5], vcc
	s_cbranch_execz .LBB0_11
; %bb.10:
	s_movk_i32 s6, 0x700
	v_and_or_b32 v61, v78, s6, v75
	v_fma_f32 v36, v36, 2.0, -v40
	v_fma_f32 v35, v35, 2.0, -v39
	;; [unrolled: 1-line block ×4, first 2 shown]
	v_lshlrev_b32_e32 v61, 3, v61
	v_fma_f32 v30, v30, 2.0, -v52
	v_fma_f32 v29, v29, 2.0, -v51
	;; [unrolled: 1-line block ×8, first 2 shown]
	ds_write2_b64 v61, v[31:32], v[35:36] offset1:16
	ds_write2_b64 v61, v[57:58], v[59:60] offset0:32 offset1:48
	ds_write2_b64 v61, v[33:34], v[29:30] offset0:64 offset1:80
	;; [unrolled: 1-line block ×7, first 2 shown]
.LBB0_11:
	s_or_b64 exec, exec, s[4:5]
	v_mad_u64_u32 v[57:58], s[0:1], v0, 40, s[0:1]
	s_load_dwordx4 s[4:7], s[2:3], 0x0
	s_waitcnt lgkmcnt(0)
	s_barrier
	global_load_dwordx4 v[33:36], v[57:58], off offset:1920
	global_load_dwordx4 v[29:32], v[57:58], off offset:1936
	global_load_dwordx2 v[72:73], v[57:58], off offset:1952
	ds_read2st64_b64 v[57:60], v74 offset1:4
	ds_read2st64_b64 v[61:64], v74 offset0:8 offset1:12
	ds_read2st64_b64 v[65:68], v74 offset0:16 offset1:20
	v_or_b32_e32 v76, 0x300, v0
	v_lshlrev_b32_e32 v76, 3, v76
	s_waitcnt vmcnt(2) lgkmcnt(2)
	v_mul_f32_e32 v80, v59, v34
	s_waitcnt lgkmcnt(1)
	v_mul_f32_e32 v81, v62, v36
	v_mul_f32_e32 v82, v61, v36
	s_waitcnt vmcnt(1)
	v_mul_f32_e32 v83, v64, v30
	v_mul_f32_e32 v84, v63, v30
	s_waitcnt lgkmcnt(0)
	v_mul_f32_e32 v86, v65, v32
	s_waitcnt vmcnt(0)
	v_mul_f32_e32 v87, v68, v73
	v_mul_f32_e32 v88, v67, v73
	;; [unrolled: 1-line block ×4, first 2 shown]
	v_fmac_f32_e32 v80, v60, v33
	v_fma_f32 v60, v61, v35, -v81
	v_fmac_f32_e32 v82, v62, v35
	v_fma_f32 v61, v63, v29, -v83
	v_fmac_f32_e32 v84, v64, v29
	v_fmac_f32_e32 v86, v66, v31
	v_fma_f32 v63, v67, v72, -v87
	v_fmac_f32_e32 v88, v68, v72
	v_fma_f32 v59, v59, v33, -v79
	v_fma_f32 v62, v65, v31, -v85
	v_sub_f32_e32 v66, v82, v86
	v_add_f32_e32 v67, v58, v82
	v_add_f32_e32 v68, v82, v86
	v_add_f32_e32 v81, v61, v63
	v_sub_f32_e32 v82, v84, v88
	v_add_f32_e32 v83, v80, v84
	v_add_f32_e32 v84, v84, v88
	;; [unrolled: 1-line block ×5, first 2 shown]
	v_fma_f32 v68, -0.5, v68, v58
	v_fmac_f32_e32 v59, -0.5, v81
	v_fmac_f32_e32 v80, -0.5, v84
	v_sub_f32_e32 v60, v60, v62
	v_sub_f32_e32 v61, v61, v63
	v_add_f32_e32 v62, v64, v62
	v_fma_f32 v65, -0.5, v65, v57
	v_add_f32_e32 v64, v67, v86
	v_add_f32_e32 v67, v83, v88
	v_mov_b32_e32 v81, v68
	v_mov_b32_e32 v83, v59
	v_fmac_f32_e32 v59, 0xbf5db3d7, v82
	v_mov_b32_e32 v84, v80
	v_add_f32_e32 v63, v79, v63
	v_mov_b32_e32 v79, v65
	v_fmac_f32_e32 v68, 0x3f5db3d7, v60
	v_fmac_f32_e32 v80, 0x3f5db3d7, v61
	;; [unrolled: 1-line block ×5, first 2 shown]
	v_mul_f32_e32 v60, -0.5, v59
	v_fmac_f32_e32 v65, 0xbf5db3d7, v66
	v_fmac_f32_e32 v79, 0x3f5db3d7, v66
	v_mul_f32_e32 v66, -0.5, v80
	v_mul_f32_e32 v82, 0x3f5db3d7, v84
	v_fmac_f32_e32 v60, 0x3f5db3d7, v80
	v_mul_f32_e32 v80, 0xbf5db3d7, v83
	v_fmac_f32_e32 v66, 0xbf5db3d7, v59
	v_fmac_f32_e32 v82, 0.5, v83
	v_fmac_f32_e32 v80, 0.5, v84
	v_add_f32_e32 v57, v62, v63
	v_add_f32_e32 v58, v64, v67
	v_sub_f32_e32 v63, v62, v63
	v_sub_f32_e32 v64, v64, v67
	v_add_f32_e32 v61, v65, v60
	v_add_f32_e32 v62, v68, v66
	v_sub_f32_e32 v67, v65, v60
	v_sub_f32_e32 v68, v68, v66
	;; [unrolled: 4-line block ×3, first 2 shown]
	ds_write2st64_b64 v74, v[61:62], v[63:64] offset0:8 offset1:12
	ds_write2st64_b64 v74, v[57:58], v[59:60] offset1:4
	ds_write2st64_b64 v74, v[65:66], v[67:68] offset0:16 offset1:20
	s_waitcnt lgkmcnt(0)
	s_barrier
	s_and_saveexec_b64 s[2:3], vcc
	s_cbranch_execz .LBB0_13
; %bb.12:
	s_add_u32 s8, s12, 0x3000
	s_addc_u32 s9, s13, 0
	v_add_co_u32_e64 v89, s[0:1], s8, v74
	v_mov_b32_e32 v83, s9
	v_addc_co_u32_e64 v90, s[0:1], 0, v83, s[0:1]
	global_load_dwordx2 v[83:84], v74, s[8:9]
	ds_read2_b64 v[79:82], v74 offset1:96
	v_add_u32_e32 v87, 0x400, v74
	s_movk_i32 s0, 0x1000
	v_add_u32_e32 v91, 0x1000, v74
	s_waitcnt vmcnt(0) lgkmcnt(0)
	v_mul_f32_e32 v85, v80, v84
	v_mul_f32_e32 v86, v79, v84
	v_fma_f32 v85, v79, v83, -v85
	v_fmac_f32_e32 v86, v80, v83
	global_load_dwordx2 v[79:80], v74, s[8:9] offset:768
	s_waitcnt vmcnt(0)
	v_mul_f32_e32 v83, v82, v80
	v_mul_f32_e32 v84, v81, v80
	v_fma_f32 v83, v81, v79, -v83
	v_fmac_f32_e32 v84, v82, v79
	ds_write2_b64 v74, v[85:86], v[83:84] offset1:96
	global_load_dwordx2 v[83:84], v74, s[8:9] offset:1536
	ds_read2_b64 v[79:82], v87 offset0:64 offset1:160
	s_waitcnt vmcnt(0) lgkmcnt(0)
	v_mul_f32_e32 v85, v80, v84
	v_mul_f32_e32 v86, v79, v84
	v_fma_f32 v85, v79, v83, -v85
	v_fmac_f32_e32 v86, v80, v83
	global_load_dwordx2 v[79:80], v74, s[8:9] offset:2304
	s_waitcnt vmcnt(0)
	v_mul_f32_e32 v83, v82, v80
	v_mul_f32_e32 v84, v81, v80
	v_fma_f32 v83, v81, v79, -v83
	v_fmac_f32_e32 v84, v82, v79
	ds_write2_b64 v87, v[85:86], v[83:84] offset0:64 offset1:160
	global_load_dwordx2 v[83:84], v74, s[8:9] offset:3072
	v_add_u32_e32 v87, 0x800, v74
	ds_read2_b64 v[79:82], v87 offset0:128 offset1:224
	s_waitcnt vmcnt(0) lgkmcnt(0)
	v_mul_f32_e32 v85, v80, v84
	v_mul_f32_e32 v86, v79, v84
	v_fma_f32 v85, v79, v83, -v85
	v_fmac_f32_e32 v86, v80, v83
	global_load_dwordx2 v[79:80], v74, s[8:9] offset:3840
	s_waitcnt vmcnt(0)
	v_mul_f32_e32 v83, v82, v80
	v_mul_f32_e32 v84, v81, v80
	v_fma_f32 v83, v81, v79, -v83
	v_fmac_f32_e32 v84, v82, v79
	ds_write2_b64 v87, v[85:86], v[83:84] offset0:128 offset1:224
	v_add_co_u32_e64 v83, s[0:1], s0, v89
	v_addc_co_u32_e64 v84, s[0:1], 0, v90, s[0:1]
	global_load_dwordx2 v[85:86], v[83:84], off offset:512
	ds_read2_b64 v[79:82], v91 offset0:64 offset1:160
	s_movk_i32 s0, 0x2000
	s_waitcnt vmcnt(0) lgkmcnt(0)
	v_mul_f32_e32 v87, v80, v86
	v_mul_f32_e32 v88, v79, v86
	v_fma_f32 v87, v79, v85, -v87
	v_fmac_f32_e32 v88, v80, v85
	global_load_dwordx2 v[79:80], v[83:84], off offset:1280
	s_waitcnt vmcnt(0)
	v_mul_f32_e32 v85, v82, v80
	v_mul_f32_e32 v86, v81, v80
	v_fma_f32 v85, v81, v79, -v85
	v_fmac_f32_e32 v86, v82, v79
	ds_write2_b64 v91, v[87:88], v[85:86] offset0:64 offset1:160
	global_load_dwordx2 v[85:86], v76, s[8:9]
	v_add_u32_e32 v91, 0x1800, v74
	ds_read2_b64 v[79:82], v91 offset1:96
	s_waitcnt vmcnt(0) lgkmcnt(0)
	v_mul_f32_e32 v87, v80, v86
	v_mul_f32_e32 v88, v79, v86
	v_fma_f32 v87, v79, v85, -v87
	v_fmac_f32_e32 v88, v80, v85
	global_load_dwordx2 v[79:80], v[83:84], off offset:2816
	s_waitcnt vmcnt(0)
	v_mul_f32_e32 v85, v82, v80
	global_load_dwordx2 v[83:84], v[83:84], off offset:3584
	v_mul_f32_e32 v86, v81, v80
	v_fma_f32 v85, v81, v79, -v85
	v_fmac_f32_e32 v86, v82, v79
	ds_write2_b64 v91, v[87:88], v[85:86] offset1:96
	v_add_u32_e32 v91, 0x1c00, v74
	ds_read2_b64 v[79:82], v91 offset0:64 offset1:160
	s_waitcnt vmcnt(0) lgkmcnt(0)
	v_mul_f32_e32 v85, v80, v84
	v_mul_f32_e32 v86, v79, v84
	v_fma_f32 v85, v79, v83, -v85
	v_fmac_f32_e32 v86, v80, v83
	v_add_co_u32_e64 v83, s[0:1], s0, v89
	v_addc_co_u32_e64 v84, s[0:1], 0, v90, s[0:1]
	global_load_dwordx2 v[79:80], v[83:84], off offset:256
	v_add_u32_e32 v89, 0x2000, v74
	s_waitcnt vmcnt(0)
	v_mul_f32_e32 v87, v82, v80
	v_mul_f32_e32 v88, v81, v80
	v_fma_f32 v87, v81, v79, -v87
	v_fmac_f32_e32 v88, v82, v79
	ds_write2_b64 v91, v[85:86], v[87:88] offset0:64 offset1:160
	v_or_b32_e32 v85, 0x2400, v74
	global_load_dwordx2 v[85:86], v85, s[8:9]
	ds_read2_b64 v[79:82], v89 offset0:128 offset1:224
	s_waitcnt vmcnt(0) lgkmcnt(0)
	v_mul_f32_e32 v87, v80, v86
	v_mul_f32_e32 v88, v79, v86
	v_fma_f32 v87, v79, v85, -v87
	v_fmac_f32_e32 v88, v80, v85
	global_load_dwordx2 v[79:80], v[83:84], off offset:1792
	s_waitcnt vmcnt(0)
	v_mul_f32_e32 v85, v82, v80
	v_mul_f32_e32 v86, v81, v80
	v_fma_f32 v85, v81, v79, -v85
	v_fmac_f32_e32 v86, v82, v79
	ds_write2_b64 v89, v[87:88], v[85:86] offset0:128 offset1:224
	global_load_dwordx2 v[85:86], v[83:84], off offset:2560
	v_add_u32_e32 v89, 0x2800, v74
	ds_read2_b64 v[79:82], v89 offset0:64 offset1:160
	s_waitcnt vmcnt(0) lgkmcnt(0)
	v_mul_f32_e32 v87, v80, v86
	v_mul_f32_e32 v88, v79, v86
	v_fma_f32 v87, v79, v85, -v87
	v_fmac_f32_e32 v88, v80, v85
	global_load_dwordx2 v[79:80], v[83:84], off offset:3328
	s_waitcnt vmcnt(0)
	v_mul_f32_e32 v83, v82, v80
	v_mul_f32_e32 v84, v81, v80
	v_fma_f32 v83, v81, v79, -v83
	v_fmac_f32_e32 v84, v82, v79
	ds_write2_b64 v89, v[87:88], v[83:84] offset0:64 offset1:160
.LBB0_13:
	s_or_b64 exec, exec, s[2:3]
	s_waitcnt lgkmcnt(0)
	s_barrier
	s_and_saveexec_b64 s[0:1], vcc
	s_cbranch_execz .LBB0_15
; %bb.14:
	v_add_u32_e32 v37, 0x400, v74
	ds_read2_b64 v[61:64], v37 offset0:64 offset1:160
	v_add_u32_e32 v37, 0x800, v74
	ds_read2_b64 v[65:68], v37 offset0:128 offset1:224
	;; [unrolled: 2-line block ×3, first 2 shown]
	v_add_u32_e32 v37, 0x1800, v74
	v_add_u32_e32 v41, 0x1c00, v74
	;; [unrolled: 1-line block ×4, first 2 shown]
	ds_read2_b64 v[57:60], v74 offset1:96
	ds_read2_b64 v[37:40], v37 offset1:96
	ds_read2_b64 v[41:44], v41 offset0:64 offset1:160
	ds_read2_b64 v[49:52], v49 offset0:128 offset1:224
	ds_read2_b64 v[53:56], v53 offset0:64 offset1:160
.LBB0_15:
	s_or_b64 exec, exec, s[0:1]
	s_waitcnt lgkmcnt(3)
	v_sub_f32_e32 v37, v57, v37
	v_sub_f32_e32 v38, v58, v38
	s_waitcnt lgkmcnt(1)
	v_sub_f32_e32 v49, v65, v49
	v_sub_f32_e32 v50, v66, v50
	v_sub_f32_e32 v41, v61, v41
	v_sub_f32_e32 v42, v62, v42
	s_waitcnt lgkmcnt(0)
	v_sub_f32_e32 v53, v45, v53
	v_sub_f32_e32 v54, v46, v54
	v_fma_f32 v57, v57, 2.0, -v37
	v_fma_f32 v58, v58, 2.0, -v38
	;; [unrolled: 1-line block ×8, first 2 shown]
	v_sub_f32_e32 v39, v59, v39
	v_sub_f32_e32 v40, v60, v40
	;; [unrolled: 1-line block ×8, first 2 shown]
	v_add_f32_e32 v50, v50, v37
	v_sub_f32_e32 v49, v38, v49
	v_fma_f32 v59, v59, 2.0, -v39
	v_fma_f32 v60, v60, 2.0, -v40
	;; [unrolled: 1-line block ×8, first 2 shown]
	v_sub_f32_e32 v65, v57, v65
	v_sub_f32_e32 v66, v58, v66
	v_fma_f32 v37, v37, 2.0, -v50
	v_fma_f32 v38, v38, 2.0, -v49
	v_sub_f32_e32 v45, v61, v45
	v_sub_f32_e32 v46, v62, v46
	v_add_f32_e32 v54, v54, v41
	v_sub_f32_e32 v53, v42, v53
	v_add_f32_e32 v52, v52, v39
	v_sub_f32_e32 v51, v40, v51
	v_fma_f32 v41, v41, 2.0, -v54
	v_fma_f32 v42, v42, 2.0, -v53
	v_sub_f32_e32 v67, v59, v67
	v_sub_f32_e32 v68, v60, v68
	v_fma_f32 v39, v39, 2.0, -v52
	v_fma_f32 v40, v40, 2.0, -v51
	v_sub_f32_e32 v47, v63, v47
	v_sub_f32_e32 v48, v64, v48
	v_add_f32_e32 v56, v56, v43
	v_sub_f32_e32 v55, v44, v55
	v_mov_b32_e32 v79, v37
	v_mov_b32_e32 v80, v38
	v_add_f32_e32 v83, v46, v65
	v_sub_f32_e32 v84, v66, v45
	v_mov_b32_e32 v85, v50
	v_mov_b32_e32 v86, v49
	v_fma_f32 v57, v57, 2.0, -v65
	v_fma_f32 v58, v58, 2.0, -v66
	;; [unrolled: 1-line block ×10, first 2 shown]
	v_fmac_f32_e32 v79, 0xbf3504f3, v41
	v_fmac_f32_e32 v80, 0xbf3504f3, v42
	v_fma_f32 v45, v65, 2.0, -v83
	v_fma_f32 v46, v66, 2.0, -v84
	v_fmac_f32_e32 v85, 0x3f3504f3, v54
	v_fmac_f32_e32 v86, 0x3f3504f3, v53
	v_mov_b32_e32 v65, v39
	v_mov_b32_e32 v66, v40
	;; [unrolled: 1-line block ×4, first 2 shown]
	v_sub_f32_e32 v61, v57, v61
	v_sub_f32_e32 v62, v58, v62
	v_fmac_f32_e32 v79, 0x3f3504f3, v42
	v_fmac_f32_e32 v80, 0xbf3504f3, v41
	;; [unrolled: 1-line block ×4, first 2 shown]
	v_sub_f32_e32 v63, v59, v63
	v_sub_f32_e32 v64, v60, v64
	v_fmac_f32_e32 v65, 0xbf3504f3, v43
	v_fmac_f32_e32 v66, 0xbf3504f3, v44
	;; [unrolled: 1-line block ×4, first 2 shown]
	v_fma_f32 v57, v57, 2.0, -v61
	v_fma_f32 v58, v58, 2.0, -v62
	;; [unrolled: 1-line block ×8, first 2 shown]
	v_fmac_f32_e32 v65, 0x3f3504f3, v44
	v_fmac_f32_e32 v66, 0xbf3504f3, v43
	v_fmac_f32_e32 v89, 0x3f3504f3, v55
	v_fmac_f32_e32 v90, 0xbf3504f3, v56
	v_mov_b32_e32 v55, v79
	v_mov_b32_e32 v56, v80
	v_add_f32_e32 v87, v48, v67
	v_sub_f32_e32 v88, v68, v47
	v_fma_f32 v52, v52, 2.0, -v89
	v_fma_f32 v51, v51, 2.0, -v90
	v_sub_f32_e32 v41, v57, v37
	v_sub_f32_e32 v42, v58, v38
	v_mov_b32_e32 v59, v53
	v_mov_b32_e32 v60, v54
	v_fmac_f32_e32 v55, 0x3ec3ef15, v65
	v_fmac_f32_e32 v56, 0x3ec3ef15, v66
	v_fma_f32 v39, v39, 2.0, -v65
	v_fma_f32 v40, v40, 2.0, -v66
	;; [unrolled: 1-line block ×6, first 2 shown]
	v_mov_b32_e32 v43, v81
	v_mov_b32_e32 v44, v82
	;; [unrolled: 1-line block ×4, first 2 shown]
	v_fmac_f32_e32 v59, 0xbec3ef15, v52
	v_fmac_f32_e32 v60, 0xbec3ef15, v51
	;; [unrolled: 1-line block ×4, first 2 shown]
	v_mov_b32_e32 v65, v83
	v_mov_b32_e32 v66, v84
	;; [unrolled: 1-line block ×4, first 2 shown]
	v_fmac_f32_e32 v43, 0xbf6c835e, v39
	v_fmac_f32_e32 v44, 0xbf6c835e, v40
	;; [unrolled: 1-line block ×14, first 2 shown]
	v_fma_f32 v51, v53, 2.0, -v59
	v_fma_f32 v52, v54, 2.0, -v60
	v_add_f32_e32 v53, v64, v61
	v_sub_f32_e32 v54, v62, v63
	v_fmac_f32_e32 v65, 0x3f3504f3, v88
	v_fmac_f32_e32 v66, 0xbf3504f3, v87
	;; [unrolled: 1-line block ×4, first 2 shown]
	v_fma_f32 v39, v81, 2.0, -v43
	v_fma_f32 v40, v82, 2.0, -v44
	;; [unrolled: 1-line block ×12, first 2 shown]
	s_barrier
	s_and_saveexec_b64 s[0:1], vcc
	s_cbranch_execz .LBB0_17
; %bb.16:
	ds_write_b128 v77, v[37:40]
	ds_write_b128 v77, v[49:52] offset:16
	ds_write_b128 v77, v[45:48] offset:32
	;; [unrolled: 1-line block ×7, first 2 shown]
.LBB0_17:
	s_or_b64 exec, exec, s[0:1]
	s_waitcnt lgkmcnt(0)
	s_barrier
	s_and_saveexec_b64 s[0:1], vcc
	s_cbranch_execz .LBB0_19
; %bb.18:
	v_add_u32_e32 v41, 0x400, v74
	ds_read2_b64 v[49:52], v41 offset0:64 offset1:160
	v_add_u32_e32 v41, 0x800, v74
	ds_read2_b64 v[45:48], v41 offset0:128 offset1:224
	v_add_u32_e32 v41, 0x1000, v74
	v_add_u32_e32 v53, 0x1c00, v74
	ds_read2_b64 v[61:64], v41 offset0:64 offset1:160
	v_add_u32_e32 v41, 0x1800, v74
	ds_read2_b64 v[57:60], v53 offset0:64 offset1:160
	v_add_u32_e32 v53, 0x2000, v74
	v_add_u32_e32 v65, 0x2800, v74
	ds_read2_b64 v[37:40], v74 offset1:96
	ds_read2_b64 v[41:44], v41 offset1:96
	ds_read2_b64 v[53:56], v53 offset0:128 offset1:224
	ds_read2_b64 v[65:68], v65 offset0:64 offset1:160
.LBB0_19:
	s_or_b64 exec, exec, s[0:1]
	s_waitcnt lgkmcnt(0)
	s_barrier
	s_and_saveexec_b64 s[0:1], vcc
	s_cbranch_execz .LBB0_21
; %bb.20:
	v_mul_f32_e32 v77, v8, v49
	v_mul_f32_e32 v8, v8, v50
	v_fma_f32 v77, v7, v50, -v77
	v_fmac_f32_e32 v8, v7, v49
	v_mul_f32_e32 v7, v24, v58
	v_mul_f32_e32 v79, v24, v57
	;; [unrolled: 1-line block ×4, first 2 shown]
	v_fmac_f32_e32 v7, v23, v57
	v_fma_f32 v79, v23, v58, -v79
	v_fmac_f32_e32 v80, v15, v61
	v_mul_f32_e32 v81, v28, v66
	v_fma_f32 v15, v15, v62, -v16
	v_mul_f32_e32 v16, v28, v65
	v_sub_f32_e32 v23, v8, v7
	v_mul_f32_e32 v7, v2, v51
	v_fmac_f32_e32 v81, v27, v65
	v_fma_f32 v16, v27, v66, -v16
	v_fma_f32 v27, v1, v52, -v7
	v_mul_f32_e32 v52, v2, v52
	v_fmac_f32_e32 v52, v1, v51
	v_mul_f32_e32 v1, v18, v60
	v_mul_f32_e32 v7, v18, v59
	v_fmac_f32_e32 v1, v17, v59
	v_fma_f32 v7, v17, v60, -v7
	v_mul_f32_e32 v61, v14, v48
	v_sub_f32_e32 v17, v52, v1
	v_mul_f32_e32 v1, v14, v47
	v_fmac_f32_e32 v61, v13, v47
	v_fma_f32 v13, v13, v48, -v1
	v_mul_f32_e32 v1, v26, v55
	v_fma_f32 v1, v25, v56, -v1
	v_mul_f32_e32 v57, v6, v39
	v_sub_f32_e32 v14, v13, v1
	v_mul_f32_e32 v6, v6, v40
	v_mul_f32_e32 v1, v22, v44
	;; [unrolled: 1-line block ×3, first 2 shown]
	v_fmac_f32_e32 v6, v5, v39
	v_fmac_f32_e32 v1, v21, v43
	v_mul_f32_e32 v84, v4, v46
	v_fma_f32 v58, v21, v44, -v58
	v_sub_f32_e32 v21, v6, v1
	v_mul_f32_e32 v1, v4, v45
	v_fmac_f32_e32 v84, v3, v45
	v_fma_f32 v3, v3, v46, -v1
	v_mul_f32_e32 v1, v20, v53
	v_mul_f32_e32 v83, v12, v41
	v_mul_f32_e32 v85, v20, v54
	v_fma_f32 v1, v19, v54, -v1
	v_fma_f32 v83, v11, v42, -v83
	v_fmac_f32_e32 v85, v19, v53
	v_mul_f32_e32 v62, v26, v56
	v_sub_f32_e32 v19, v3, v1
	v_mul_f32_e32 v1, v12, v42
	v_sub_f32_e32 v83, v38, v83
	v_sub_f32_e32 v85, v84, v85
	;; [unrolled: 1-line block ×3, first 2 shown]
	v_mul_f32_e32 v7, v10, v64
	v_mul_f32_e32 v49, v71, v68
	v_fma_f32 v57, v5, v40, -v57
	v_fmac_f32_e32 v62, v25, v55
	v_mul_f32_e32 v10, v10, v63
	v_fmac_f32_e32 v1, v11, v41
	v_sub_f32_e32 v79, v77, v79
	v_sub_f32_e32 v81, v80, v81
	;; [unrolled: 1-line block ×3, first 2 shown]
	v_fmac_f32_e32 v7, v9, v63
	v_fmac_f32_e32 v49, v70, v67
	v_sub_f32_e32 v58, v57, v58
	v_sub_f32_e32 v62, v61, v62
	v_fma_f32 v9, v9, v64, -v10
	v_mul_f32_e32 v10, v71, v67
	v_sub_f32_e32 v12, v37, v1
	v_sub_f32_e32 v82, v79, v81
	v_mov_b32_e32 v87, v86
	v_sub_f32_e32 v16, v15, v16
	v_sub_f32_e32 v49, v7, v49
	;; [unrolled: 1-line block ×3, first 2 shown]
	v_fma_f32 v10, v70, v68, -v10
	v_add_f32_e32 v20, v19, v12
	v_fma_f32 v3, v3, 2.0, -v19
	v_fma_f32 v19, v8, 2.0, -v23
	;; [unrolled: 1-line block ×3, first 2 shown]
	v_fmac_f32_e32 v87, 0x3f3504f3, v82
	v_add_f32_e32 v24, v16, v23
	v_sub_f32_e32 v50, v28, v49
	v_mov_b32_e32 v66, v65
	v_sub_f32_e32 v10, v9, v10
	v_add_f32_e32 v22, v14, v21
	v_sub_f32_e32 v39, v19, v8
	v_fma_f32 v41, v57, 2.0, -v58
	v_fma_f32 v8, v13, 2.0, -v14
	;; [unrolled: 1-line block ×7, first 2 shown]
	v_fmac_f32_e32 v87, 0xbf3504f3, v24
	v_fmac_f32_e32 v66, 0x3f3504f3, v50
	v_add_f32_e32 v18, v10, v17
	v_mov_b32_e32 v25, v22
	v_sub_f32_e32 v42, v41, v8
	v_sub_f32_e32 v43, v14, v7
	v_fma_f32 v8, v9, 2.0, -v10
	v_sub_f32_e32 v47, v46, v6
	v_fma_f32 v10, v79, 2.0, -v82
	v_mov_b32_e32 v53, v52
	v_fma_f32 v56, v12, 2.0, -v20
	v_fmac_f32_e32 v66, 0xbf3504f3, v18
	v_fmac_f32_e32 v25, 0x3f3504f3, v18
	v_mov_b32_e32 v26, v20
	v_fmac_f32_e32 v53, 0xbf3504f3, v10
	v_fma_f32 v23, v23, 2.0, -v24
	v_fma_f32 v17, v17, 2.0, -v18
	v_mov_b32_e32 v57, v56
	v_fma_f32 v46, v46, 2.0, -v47
	v_fma_f32 v14, v14, 2.0, -v43
	;; [unrolled: 1-line block ×3, first 2 shown]
	v_fmac_f32_e32 v25, 0x3f3504f3, v50
	v_fmac_f32_e32 v26, 0x3f3504f3, v24
	v_sub_f32_e32 v44, v42, v43
	v_fmac_f32_e32 v53, 0xbf3504f3, v23
	v_fmac_f32_e32 v57, 0xbf3504f3, v23
	v_sub_f32_e32 v43, v46, v14
	v_fma_f32 v14, v19, 2.0, -v39
	v_fma_f32 v23, v65, 2.0, -v66
	v_mov_b32_e32 v19, v18
	v_fmac_f32_e32 v26, 0x3f3504f3, v82
	v_fma_f32 v38, v38, 2.0, -v83
	v_fma_f32 v13, v28, 2.0, -v50
	;; [unrolled: 1-line block ×3, first 2 shown]
	v_fmac_f32_e32 v19, 0xbec3ef15, v23
	v_fma_f32 v22, v22, 2.0, -v25
	v_sub_f32_e32 v3, v38, v3
	v_fmac_f32_e32 v19, 0xbf6c835e, v22
	v_fma_f32 v20, v20, 2.0, -v26
	v_mov_b32_e32 v1, v26
	v_sub_f32_e32 v40, v3, v39
	v_fma_f32 v27, v27, 2.0, -v28
	v_fma_f32 v21, v18, 2.0, -v19
	v_mov_b32_e32 v18, v20
	v_fmac_f32_e32 v1, 0x3f6c835e, v25
	v_sub_f32_e32 v45, v27, v8
	v_fma_f32 v49, v77, 2.0, -v79
	v_fma_f32 v6, v15, 2.0, -v16
	;; [unrolled: 1-line block ×4, first 2 shown]
	v_fmac_f32_e32 v18, 0xbec3ef15, v22
	v_fma_f32 v3, v3, 2.0, -v40
	v_fmac_f32_e32 v1, 0x3ec3ef15, v66
	v_add_f32_e32 v48, v45, v47
	v_sub_f32_e32 v15, v49, v6
	v_fma_f32 v16, v37, 2.0, -v12
	v_fma_f32 v6, v84, 2.0, -v85
	v_fmac_f32_e32 v18, 0x3f6c835e, v23
	v_fma_f32 v24, v42, 2.0, -v44
	v_mov_b32_e32 v23, v3
	v_mov_b32_e32 v2, v87
	v_fma_f32 v4, v26, 2.0, -v1
	v_sub_f32_e32 v37, v16, v6
	v_fmac_f32_e32 v23, 0xbf3504f3, v24
	v_fma_f32 v26, v47, 2.0, -v48
	v_fmac_f32_e32 v2, 0x3f6c835e, v66
	v_add_f32_e32 v51, v15, v37
	v_fmac_f32_e32 v23, 0xbf3504f3, v26
	v_fmac_f32_e32 v2, 0xbec3ef15, v25
	v_fma_f32 v25, v3, 2.0, -v23
	v_fma_f32 v3, v37, 2.0, -v51
	v_mov_b32_e32 v55, v50
	v_mov_b32_e32 v22, v3
	v_mov_b32_e32 v28, v54
	v_fmac_f32_e32 v55, 0xbf3504f3, v17
	v_fmac_f32_e32 v57, 0x3f3504f3, v10
	;; [unrolled: 1-line block ×5, first 2 shown]
	v_mov_b32_e32 v10, v57
	v_fmac_f32_e32 v22, 0x3f3504f3, v24
	v_fmac_f32_e32 v28, 0xbf3504f3, v17
	v_mov_b32_e32 v11, v53
	v_fmac_f32_e32 v10, 0x3ec3ef15, v55
	v_fma_f32 v59, v16, 2.0, -v37
	v_fma_f32 v24, v3, 2.0, -v22
	;; [unrolled: 1-line block ×3, first 2 shown]
	v_fmac_f32_e32 v11, 0x3ec3ef15, v28
	v_fmac_f32_e32 v10, 0x3f6c835e, v28
	v_sub_f32_e32 v39, v59, v14
	v_fma_f32 v14, v27, 2.0, -v45
	v_fma_f32 v28, v54, 2.0, -v28
	v_mov_b32_e32 v27, v3
	v_fmac_f32_e32 v27, 0xbf6c835e, v28
	v_fma_f32 v37, v50, 2.0, -v55
	v_fmac_f32_e32 v27, 0xbec3ef15, v37
	v_fma_f32 v38, v3, 2.0, -v27
	v_fma_f32 v3, v56, 2.0, -v57
	v_mov_b32_e32 v26, v3
	v_mov_b32_e32 v7, v40
	v_fma_f32 v15, v49, 2.0, -v15
	v_fma_f32 v41, v41, 2.0, -v42
	v_fmac_f32_e32 v26, 0xbf6c835e, v37
	v_fmac_f32_e32 v7, 0x3f3504f3, v44
	v_sub_f32_e32 v49, v58, v15
	v_sub_f32_e32 v45, v41, v14
	v_fmac_f32_e32 v26, 0x3ec3ef15, v28
	v_fmac_f32_e32 v7, 0xbf3504f3, v48
	v_fma_f32 v37, v3, 2.0, -v26
	v_fma_f32 v3, v58, 2.0, -v49
	;; [unrolled: 1-line block ×4, first 2 shown]
	v_sub_f32_e32 v40, v3, v28
	v_add_f32_e32 v14, v39, v45
	v_fma_f32 v42, v3, 2.0, -v40
	v_fma_f32 v3, v59, 2.0, -v39
	;; [unrolled: 1-line block ×3, first 2 shown]
	v_mov_b32_e32 v6, v51
	v_fma_f32 v16, v39, 2.0, -v14
	v_sub_f32_e32 v39, v3, v28
	s_movk_i32 s2, 0x700
	v_fmac_f32_e32 v6, 0x3f3504f3, v48
	v_fma_f32 v41, v3, 2.0, -v39
	v_and_or_b32 v3, v78, s2, v75
	v_fmac_f32_e32 v6, 0x3f3504f3, v44
	v_fmac_f32_e32 v11, 0xbf6c835e, v55
	v_sub_f32_e32 v15, v49, v43
	v_lshlrev_b32_e32 v3, 3, v3
	v_fma_f32 v5, v87, 2.0, -v2
	v_fma_f32 v8, v51, 2.0, -v6
	;; [unrolled: 1-line block ×6, first 2 shown]
	ds_write2_b64 v3, v[41:42], v[37:38] offset1:16
	ds_write2_b64 v3, v[24:25], v[20:21] offset0:32 offset1:48
	ds_write2_b64 v3, v[16:17], v[12:13] offset0:64 offset1:80
	ds_write2_b64 v3, v[8:9], v[4:5] offset0:96 offset1:112
	ds_write2_b64 v3, v[39:40], v[26:27] offset0:128 offset1:144
	ds_write2_b64 v3, v[22:23], v[18:19] offset0:160 offset1:176
	ds_write2_b64 v3, v[14:15], v[10:11] offset0:192 offset1:208
	ds_write2_b64 v3, v[6:7], v[1:2] offset0:224 offset1:240
.LBB0_21:
	s_or_b64 exec, exec, s[0:1]
	s_waitcnt lgkmcnt(0)
	s_barrier
	ds_read2st64_b64 v[1:4], v74 offset1:4
	ds_read2st64_b64 v[5:8], v74 offset0:8 offset1:12
	ds_read2st64_b64 v[9:12], v74 offset0:16 offset1:20
	s_waitcnt lgkmcnt(2)
	v_mul_f32_e32 v13, v34, v4
	v_fmac_f32_e32 v13, v33, v3
	v_mul_f32_e32 v3, v34, v3
	v_fma_f32 v14, v33, v4, -v3
	s_waitcnt lgkmcnt(1)
	v_mul_f32_e32 v3, v36, v6
	v_mul_f32_e32 v4, v36, v5
	v_fmac_f32_e32 v3, v35, v5
	v_fma_f32 v4, v35, v6, -v4
	v_mul_f32_e32 v5, v30, v8
	v_mul_f32_e32 v6, v30, v7
	v_fmac_f32_e32 v5, v29, v7
	v_fma_f32 v6, v29, v8, -v6
	s_waitcnt lgkmcnt(0)
	v_mul_f32_e32 v7, v32, v10
	v_mul_f32_e32 v8, v32, v9
	v_fmac_f32_e32 v7, v31, v9
	v_fma_f32 v8, v31, v10, -v8
	v_mul_f32_e32 v10, v73, v11
	v_mul_f32_e32 v9, v73, v12
	v_fma_f32 v10, v72, v12, -v10
	v_add_f32_e32 v12, v3, v7
	v_fma_f32 v12, -0.5, v12, v1
	v_fmac_f32_e32 v9, v72, v11
	v_add_f32_e32 v11, v1, v3
	v_sub_f32_e32 v1, v4, v8
	v_mov_b32_e32 v15, v12
	v_fmac_f32_e32 v15, 0xbf5db3d7, v1
	v_fmac_f32_e32 v12, 0x3f5db3d7, v1
	v_add_f32_e32 v1, v2, v4
	v_add_f32_e32 v16, v1, v8
	;; [unrolled: 1-line block ×3, first 2 shown]
	v_fma_f32 v17, -0.5, v1, v2
	v_sub_f32_e32 v1, v3, v7
	v_mov_b32_e32 v18, v17
	v_fmac_f32_e32 v18, 0x3f5db3d7, v1
	v_fmac_f32_e32 v17, 0xbf5db3d7, v1
	v_add_f32_e32 v1, v13, v5
	v_add_f32_e32 v11, v11, v7
	;; [unrolled: 1-line block ×4, first 2 shown]
	v_fmac_f32_e32 v13, -0.5, v1
	v_sub_f32_e32 v1, v6, v10
	v_mov_b32_e32 v4, v13
	v_fmac_f32_e32 v4, 0xbf5db3d7, v1
	v_fmac_f32_e32 v13, 0x3f5db3d7, v1
	v_add_f32_e32 v1, v14, v6
	v_add_f32_e32 v8, v1, v10
	;; [unrolled: 1-line block ×3, first 2 shown]
	v_fmac_f32_e32 v14, -0.5, v1
	v_sub_f32_e32 v1, v5, v9
	v_mov_b32_e32 v6, v14
	v_fmac_f32_e32 v6, 0x3f5db3d7, v1
	v_fmac_f32_e32 v14, 0xbf5db3d7, v1
	v_mul_f32_e32 v9, 0xbf5db3d7, v6
	v_mul_f32_e32 v19, 0.5, v6
	v_fmac_f32_e32 v9, 0.5, v4
	v_mul_f32_e32 v10, 0xbf5db3d7, v14
	v_fmac_f32_e32 v19, 0x3f5db3d7, v4
	v_mul_f32_e32 v14, -0.5, v14
	v_add_f32_e32 v1, v11, v7
	v_add_f32_e32 v3, v15, v9
	v_fmac_f32_e32 v10, -0.5, v13
	v_add_f32_e32 v2, v16, v8
	v_add_f32_e32 v4, v18, v19
	v_fmac_f32_e32 v14, 0x3f5db3d7, v13
	v_add_f32_e32 v5, v12, v10
	v_add_f32_e32 v6, v17, v14
	v_sub_f32_e32 v7, v11, v7
	v_sub_f32_e32 v9, v15, v9
	;; [unrolled: 1-line block ×6, first 2 shown]
	ds_write2st64_b64 v74, v[1:2], v[3:4] offset1:4
	ds_write2st64_b64 v74, v[5:6], v[7:8] offset0:8 offset1:12
	ds_write2st64_b64 v74, v[9:10], v[11:12] offset0:16 offset1:20
	s_waitcnt lgkmcnt(0)
	s_barrier
	s_and_b64 exec, exec, vcc
	s_cbranch_execz .LBB0_23
; %bb.22:
	global_load_dwordx2 v[13:14], v74, s[12:13]
	global_load_dwordx2 v[15:16], v74, s[12:13] offset:768
	global_load_dwordx2 v[17:18], v74, s[12:13] offset:1536
	;; [unrolled: 1-line block ×3, first 2 shown]
	ds_read2_b64 v[1:4], v74 offset1:96
	global_load_dwordx2 v[25:26], v74, s[12:13] offset:3072
	global_load_dwordx2 v[27:28], v74, s[12:13] offset:3840
	v_mad_u64_u32 v[21:22], s[0:1], s6, v69, 0
	v_mad_u64_u32 v[23:24], s[2:3], s4, v0, 0
	s_mul_i32 s3, s5, 0x300
	s_mul_hi_u32 s6, s4, 0x300
	s_add_i32 s3, s6, s3
	v_mad_u64_u32 v[31:32], s[6:7], s7, v69, v[22:23]
	v_mov_b32_e32 v5, s13
	v_add_co_u32_e32 v38, vcc, s12, v74
	s_movk_i32 s8, 0x1000
	v_addc_co_u32_e32 v39, vcc, 0, v5, vcc
	v_mov_b32_e32 v22, v31
	v_add_co_u32_e32 v29, vcc, s8, v38
	v_lshlrev_b64 v[21:22], 3, v[21:22]
	v_addc_co_u32_e32 v30, vcc, 0, v39, vcc
	v_mov_b32_e32 v37, s15
	v_add_co_u32_e32 v31, vcc, s14, v21
	v_add_u32_e32 v6, 0x400, v74
	v_add_u32_e32 v9, 0x800, v74
	ds_read2_b64 v[5:8], v6 offset0:64 offset1:160
	ds_read2_b64 v[9:12], v9 offset0:128 offset1:224
	s_mul_i32 s2, s4, 0x300
	v_mov_b32_e32 v40, s3
	s_mov_b32 s0, 0x55555555
	s_mov_b32 s1, 0x3f455555
	v_mov_b32_e32 v41, s3
	s_mul_i32 s8, s5, 0x600
	s_waitcnt vmcnt(3) lgkmcnt(1)
	v_mul_f32_e32 v42, v6, v18
	v_mul_f32_e32 v18, v5, v18
	s_waitcnt vmcnt(1)
	v_mad_u64_u32 v[32:33], s[6:7], s5, v0, v[24:25]
	global_load_dwordx2 v[33:34], v[29:30], off offset:512
	global_load_dwordx2 v[35:36], v[29:30], off offset:1280
	v_mul_f32_e32 v43, v8, v20
	v_mov_b32_e32 v24, v32
	v_lshlrev_b64 v[23:24], 3, v[23:24]
	v_addc_co_u32_e32 v32, vcc, v37, v22, vcc
	v_add_co_u32_e32 v21, vcc, v31, v23
	v_addc_co_u32_e32 v22, vcc, v32, v24, vcc
	v_add_co_u32_e32 v23, vcc, s2, v21
	v_mul_f32_e32 v37, v2, v14
	v_mul_f32_e32 v14, v1, v14
	v_addc_co_u32_e32 v24, vcc, v22, v40, vcc
	v_mul_f32_e32 v40, v4, v16
	v_mul_f32_e32 v16, v3, v16
	v_fmac_f32_e32 v37, v1, v13
	v_fma_f32 v13, v13, v2, -v14
	v_mul_f32_e32 v20, v7, v20
	v_fmac_f32_e32 v40, v3, v15
	v_fma_f32 v14, v15, v4, -v16
	v_cvt_f64_f32_e32 v[1:2], v37
	v_cvt_f64_f32_e32 v[3:4], v13
	v_fmac_f32_e32 v42, v5, v17
	v_fma_f32 v15, v17, v6, -v18
	v_fmac_f32_e32 v43, v7, v19
	v_fma_f32 v19, v19, v8, -v20
	v_cvt_f64_f32_e32 v[5:6], v40
	v_cvt_f64_f32_e32 v[7:8], v14
	;; [unrolled: 1-line block ×4, first 2 shown]
	v_mul_f64 v[1:2], v[1:2], s[0:1]
	v_mul_f64 v[3:4], v[3:4], s[0:1]
	;; [unrolled: 1-line block ×6, first 2 shown]
	v_cvt_f64_f32_e32 v[17:18], v43
	v_cvt_f64_f32_e32 v[19:20], v19
	v_cvt_f32_f64_e32 v1, v[1:2]
	v_cvt_f32_f64_e32 v2, v[3:4]
	;; [unrolled: 1-line block ×6, first 2 shown]
	global_store_dwordx2 v[21:22], v[1:2], off
	global_store_dwordx2 v[23:24], v[3:4], off
	v_add_co_u32_e32 v1, vcc, s2, v23
	v_addc_co_u32_e32 v2, vcc, v24, v41, vcc
	global_store_dwordx2 v[1:2], v[5:6], off
	s_waitcnt lgkmcnt(0)
	v_mul_f32_e32 v5, v10, v26
	v_mul_f32_e32 v7, v9, v26
	v_fmac_f32_e32 v5, v9, v25
	v_fma_f32 v7, v25, v10, -v7
	global_load_dwordx2 v[9:10], v76, s[12:13]
	v_mul_f64 v[17:18], v[17:18], s[0:1]
	v_mul_f64 v[19:20], v[19:20], s[0:1]
	v_cvt_f64_f32_e32 v[5:6], v5
	v_cvt_f64_f32_e32 v[7:8], v7
	v_mov_b32_e32 v14, s3
	v_add_co_u32_e32 v13, vcc, s2, v1
	v_or_b32_e32 v15, 0x180, v0
	v_cvt_f32_f64_e32 v3, v[17:18]
	v_cvt_f32_f64_e32 v4, v[19:20]
	v_mul_f64 v[5:6], v[5:6], s[0:1]
	v_mul_f64 v[7:8], v[7:8], s[0:1]
	v_addc_co_u32_e32 v14, vcc, v2, v14, vcc
	v_mad_u64_u32 v[1:2], s[6:7], s4, v15, 0
	global_store_dwordx2 v[13:14], v[3:4], off
	global_load_dwordx2 v[19:20], v[29:30], off offset:3584
	v_mad_u64_u32 v[2:3], s[6:7], s5, v15, v[2:3]
	s_waitcnt vmcnt(8)
	v_mul_f32_e32 v3, v12, v28
	v_fmac_f32_e32 v3, v11, v27
	v_mul_f32_e32 v11, v11, v28
	v_fma_f32 v11, v27, v12, -v11
	v_cvt_f32_f64_e32 v5, v[5:6]
	v_cvt_f32_f64_e32 v6, v[7:8]
	global_load_dwordx2 v[7:8], v[29:30], off offset:2816
	v_cvt_f64_f32_e32 v[11:12], v11
	v_cvt_f64_f32_e32 v[3:4], v3
	v_lshlrev_b64 v[1:2], 3, v[1:2]
	v_mov_b32_e32 v25, 0x600
	v_mul_f64 v[11:12], v[11:12], s[0:1]
	v_add_co_u32_e32 v17, vcc, v31, v1
	v_add_u32_e32 v1, 0x1000, v74
	v_mul_f64 v[15:16], v[3:4], s[0:1]
	v_addc_co_u32_e32 v18, vcc, v32, v2, vcc
	ds_read2_b64 v[1:4], v1 offset0:64 offset1:160
	global_store_dwordx2 v[17:18], v[5:6], off
	v_cvt_f32_f64_e32 v6, v[11:12]
	v_mad_u64_u32 v[13:14], s[6:7], s4, v25, v[13:14]
	s_waitcnt vmcnt(9) lgkmcnt(0)
	v_mul_f32_e32 v11, v2, v34
	v_fmac_f32_e32 v11, v1, v33
	v_cvt_f64_f32_e32 v[11:12], v11
	v_mul_f32_e32 v1, v1, v34
	v_fma_f32 v1, v33, v2, -v1
	v_cvt_f32_f64_e32 v5, v[15:16]
	v_mul_f64 v[11:12], v[11:12], s[0:1]
	v_cvt_f64_f32_e32 v[1:2], v1
	v_add_u32_e32 v14, s8, v14
	s_movk_i32 s6, 0x2000
	global_store_dwordx2 v[13:14], v[5:6], off
	v_mul_f64 v[1:2], v[1:2], s[0:1]
	s_waitcnt vmcnt(9)
	v_mul_f32_e32 v6, v4, v36
	v_add_co_u32_e32 v15, vcc, s6, v38
	v_fmac_f32_e32 v6, v3, v35
	v_mul_f32_e32 v3, v3, v36
	v_addc_co_u32_e32 v16, vcc, 0, v39, vcc
	global_load_dwordx2 v[17:18], v[15:16], off offset:256
	v_fma_f32 v3, v35, v4, -v3
	v_cvt_f32_f64_e32 v5, v[11:12]
	v_cvt_f64_f32_e32 v[11:12], v6
	v_cvt_f64_f32_e32 v[3:4], v3
	v_or_b32_e32 v27, 0x480, v0
	v_lshlrev_b32_e32 v0, 3, v27
	v_mul_f64 v[11:12], v[11:12], s[0:1]
	v_mul_f64 v[21:22], v[3:4], s[0:1]
	global_load_dwordx2 v[23:24], v0, s[12:13]
	v_add_u32_e32 v0, 0x1800, v74
	v_cvt_f32_f64_e32 v6, v[1:2]
	ds_read2_b64 v[0:3], v0 offset1:96
	v_mov_b32_e32 v26, s3
	v_add_co_u32_e32 v13, vcc, s2, v13
	v_addc_co_u32_e32 v14, vcc, v14, v26, vcc
	global_store_dwordx2 v[13:14], v[5:6], off
	s_waitcnt vmcnt(8) lgkmcnt(0)
	v_mul_f32_e32 v5, v1, v10
	v_fmac_f32_e32 v5, v0, v9
	v_cvt_f32_f64_e32 v4, v[11:12]
	v_cvt_f64_f32_e32 v[11:12], v5
	v_cvt_f32_f64_e32 v5, v[21:22]
	global_load_dwordx2 v[21:22], v[15:16], off offset:1792
	v_mul_f32_e32 v0, v0, v10
	v_fma_f32 v0, v9, v1, -v0
	v_cvt_f64_f32_e32 v[0:1], v0
	v_mul_f64 v[11:12], v[11:12], s[0:1]
	v_mov_b32_e32 v6, s3
	v_add_co_u32_e32 v9, vcc, s2, v13
	v_mul_f64 v[0:1], v[0:1], s[0:1]
	v_addc_co_u32_e32 v10, vcc, v14, v6, vcc
	global_store_dwordx2 v[9:10], v[4:5], off
	v_cvt_f32_f64_e32 v4, v[11:12]
	v_mov_b32_e32 v13, s3
	s_waitcnt vmcnt(7)
	v_mul_f32_e32 v5, v3, v8
	v_fmac_f32_e32 v5, v2, v7
	v_mul_f32_e32 v2, v2, v8
	v_fma_f32 v2, v7, v3, -v2
	v_cvt_f64_f32_e32 v[11:12], v5
	v_cvt_f64_f32_e32 v[2:3], v2
	v_cvt_f32_f64_e32 v5, v[0:1]
	v_add_u32_e32 v0, 0x1c00, v74
	v_mul_f64 v[6:7], v[11:12], s[0:1]
	v_mul_f64 v[11:12], v[2:3], s[0:1]
	ds_read2_b64 v[0:3], v0 offset0:64 offset1:160
	v_add_co_u32_e32 v8, vcc, s2, v9
	v_addc_co_u32_e32 v9, vcc, v10, v13, vcc
	global_store_dwordx2 v[8:9], v[4:5], off
	s_waitcnt lgkmcnt(0)
	v_mul_f32_e32 v4, v1, v20
	v_fmac_f32_e32 v4, v0, v19
	v_cvt_f64_f32_e32 v[4:5], v4
	v_mul_f32_e32 v0, v0, v20
	v_fma_f32 v0, v19, v1, -v0
	v_cvt_f64_f32_e32 v[0:1], v0
	v_mul_f64 v[4:5], v[4:5], s[0:1]
	v_cvt_f32_f64_e32 v6, v[6:7]
	v_cvt_f32_f64_e32 v7, v[11:12]
	v_mul_f64 v[0:1], v[0:1], s[0:1]
	v_mov_b32_e32 v10, s3
	v_add_co_u32_e32 v8, vcc, s2, v8
	v_addc_co_u32_e32 v9, vcc, v9, v10, vcc
	v_cvt_f32_f64_e32 v4, v[4:5]
	global_store_dwordx2 v[8:9], v[6:7], off
	v_add_co_u32_e32 v8, vcc, s2, v8
	s_waitcnt vmcnt(6)
	v_mul_f32_e32 v5, v3, v18
	v_fmac_f32_e32 v5, v2, v17
	v_mul_f32_e32 v2, v2, v18
	v_fma_f32 v2, v17, v3, -v2
	v_cvt_f64_f32_e32 v[2:3], v2
	v_cvt_f64_f32_e32 v[6:7], v5
	v_cvt_f32_f64_e32 v5, v[0:1]
	v_mov_b32_e32 v0, s3
	v_addc_co_u32_e32 v9, vcc, v9, v0, vcc
	v_add_u32_e32 v0, 0x2000, v74
	v_mul_f64 v[10:11], v[2:3], s[0:1]
	ds_read2_b64 v[0:3], v0 offset0:128 offset1:224
	v_mul_f64 v[6:7], v[6:7], s[0:1]
	global_store_dwordx2 v[8:9], v[4:5], off
	v_add_co_u32_e32 v8, vcc, s2, v8
	v_cvt_f32_f64_e32 v5, v[10:11]
	v_mov_b32_e32 v10, s3
	v_cvt_f32_f64_e32 v4, v[6:7]
	s_waitcnt vmcnt(6) lgkmcnt(0)
	v_mul_f32_e32 v6, v1, v24
	v_fmac_f32_e32 v6, v0, v23
	s_waitcnt vmcnt(4)
	v_mul_f32_e32 v12, v3, v22
	v_fmac_f32_e32 v12, v2, v21
	v_cvt_f64_f32_e32 v[12:13], v12
	v_mul_f32_e32 v0, v0, v24
	v_mul_f32_e32 v2, v2, v22
	v_fma_f32 v0, v23, v1, -v0
	v_fma_f32 v2, v21, v3, -v2
	v_mul_f64 v[12:13], v[12:13], s[0:1]
	v_cvt_f64_f32_e32 v[6:7], v6
	v_cvt_f64_f32_e32 v[0:1], v0
	;; [unrolled: 1-line block ×3, first 2 shown]
	v_addc_co_u32_e32 v9, vcc, v9, v10, vcc
	v_mad_u64_u32 v[10:11], s[6:7], s4, v27, 0
	v_mul_f64 v[6:7], v[6:7], s[0:1]
	v_mul_f64 v[0:1], v[0:1], s[0:1]
	;; [unrolled: 1-line block ×3, first 2 shown]
	v_mad_u64_u32 v[17:18], s[6:7], s5, v27, v[11:12]
	global_store_dwordx2 v[8:9], v[4:5], off
	v_mad_u64_u32 v[8:9], s[4:5], s4, v25, v[8:9]
	v_mov_b32_e32 v11, v17
	v_cvt_f32_f64_e32 v4, v[6:7]
	v_cvt_f32_f64_e32 v5, v[0:1]
	v_lshlrev_b64 v[0:1], 3, v[10:11]
	v_cvt_f32_f64_e32 v6, v[12:13]
	v_cvt_f32_f64_e32 v7, v[2:3]
	v_add_co_u32_e32 v0, vcc, v31, v0
	v_addc_co_u32_e32 v1, vcc, v32, v1, vcc
	v_add_u32_e32 v9, s8, v9
	global_store_dwordx2 v[0:1], v[4:5], off
	global_store_dwordx2 v[8:9], v[6:7], off
	global_load_dwordx2 v[4:5], v[15:16], off offset:2560
	v_add_u32_e32 v0, 0x2800, v74
	ds_read2_b64 v[0:3], v0 offset0:64 offset1:160
	s_waitcnt vmcnt(0) lgkmcnt(0)
	v_mul_f32_e32 v6, v1, v5
	v_fmac_f32_e32 v6, v0, v4
	v_mul_f32_e32 v0, v0, v5
	v_fma_f32 v0, v4, v1, -v0
	v_cvt_f64_f32_e32 v[6:7], v6
	v_cvt_f64_f32_e32 v[0:1], v0
	v_mul_f64 v[4:5], v[6:7], s[0:1]
	v_mul_f64 v[0:1], v[0:1], s[0:1]
	v_cvt_f32_f64_e32 v4, v[4:5]
	v_cvt_f32_f64_e32 v5, v[0:1]
	v_mov_b32_e32 v1, s3
	v_add_co_u32_e32 v0, vcc, s2, v8
	v_addc_co_u32_e32 v1, vcc, v9, v1, vcc
	global_store_dwordx2 v[0:1], v[4:5], off
	global_load_dwordx2 v[4:5], v[15:16], off offset:3328
	v_add_co_u32_e32 v0, vcc, s2, v0
	s_waitcnt vmcnt(0)
	v_mul_f32_e32 v6, v3, v5
	v_fmac_f32_e32 v6, v2, v4
	v_mul_f32_e32 v2, v2, v5
	v_fma_f32 v2, v4, v3, -v2
	v_cvt_f64_f32_e32 v[6:7], v6
	v_cvt_f64_f32_e32 v[2:3], v2
	v_mul_f64 v[4:5], v[6:7], s[0:1]
	v_mul_f64 v[2:3], v[2:3], s[0:1]
	v_cvt_f32_f64_e32 v4, v[4:5]
	v_cvt_f32_f64_e32 v5, v[2:3]
	v_mov_b32_e32 v2, s3
	v_addc_co_u32_e32 v1, vcc, v1, v2, vcc
	global_store_dwordx2 v[0:1], v[4:5], off
.LBB0_23:
	s_endpgm
	.section	.rodata,"a",@progbits
	.p2align	6, 0x0
	.amdhsa_kernel bluestein_single_back_len1536_dim1_sp_op_CI_CI
		.amdhsa_group_segment_fixed_size 12288
		.amdhsa_private_segment_fixed_size 0
		.amdhsa_kernarg_size 104
		.amdhsa_user_sgpr_count 6
		.amdhsa_user_sgpr_private_segment_buffer 1
		.amdhsa_user_sgpr_dispatch_ptr 0
		.amdhsa_user_sgpr_queue_ptr 0
		.amdhsa_user_sgpr_kernarg_segment_ptr 1
		.amdhsa_user_sgpr_dispatch_id 0
		.amdhsa_user_sgpr_flat_scratch_init 0
		.amdhsa_user_sgpr_private_segment_size 0
		.amdhsa_uses_dynamic_stack 0
		.amdhsa_system_sgpr_private_segment_wavefront_offset 0
		.amdhsa_system_sgpr_workgroup_id_x 1
		.amdhsa_system_sgpr_workgroup_id_y 0
		.amdhsa_system_sgpr_workgroup_id_z 0
		.amdhsa_system_sgpr_workgroup_info 0
		.amdhsa_system_vgpr_workitem_id 0
		.amdhsa_next_free_vgpr 97
		.amdhsa_next_free_sgpr 16
		.amdhsa_reserve_vcc 1
		.amdhsa_reserve_flat_scratch 0
		.amdhsa_float_round_mode_32 0
		.amdhsa_float_round_mode_16_64 0
		.amdhsa_float_denorm_mode_32 3
		.amdhsa_float_denorm_mode_16_64 3
		.amdhsa_dx10_clamp 1
		.amdhsa_ieee_mode 1
		.amdhsa_fp16_overflow 0
		.amdhsa_exception_fp_ieee_invalid_op 0
		.amdhsa_exception_fp_denorm_src 0
		.amdhsa_exception_fp_ieee_div_zero 0
		.amdhsa_exception_fp_ieee_overflow 0
		.amdhsa_exception_fp_ieee_underflow 0
		.amdhsa_exception_fp_ieee_inexact 0
		.amdhsa_exception_int_div_zero 0
	.end_amdhsa_kernel
	.text
.Lfunc_end0:
	.size	bluestein_single_back_len1536_dim1_sp_op_CI_CI, .Lfunc_end0-bluestein_single_back_len1536_dim1_sp_op_CI_CI
                                        ; -- End function
	.section	.AMDGPU.csdata,"",@progbits
; Kernel info:
; codeLenInByte = 10908
; NumSgprs: 20
; NumVgprs: 97
; ScratchSize: 0
; MemoryBound: 0
; FloatMode: 240
; IeeeMode: 1
; LDSByteSize: 12288 bytes/workgroup (compile time only)
; SGPRBlocks: 2
; VGPRBlocks: 24
; NumSGPRsForWavesPerEU: 20
; NumVGPRsForWavesPerEU: 97
; Occupancy: 2
; WaveLimiterHint : 1
; COMPUTE_PGM_RSRC2:SCRATCH_EN: 0
; COMPUTE_PGM_RSRC2:USER_SGPR: 6
; COMPUTE_PGM_RSRC2:TRAP_HANDLER: 0
; COMPUTE_PGM_RSRC2:TGID_X_EN: 1
; COMPUTE_PGM_RSRC2:TGID_Y_EN: 0
; COMPUTE_PGM_RSRC2:TGID_Z_EN: 0
; COMPUTE_PGM_RSRC2:TIDIG_COMP_CNT: 0
	.type	__hip_cuid_76b626c63a3ba18c,@object ; @__hip_cuid_76b626c63a3ba18c
	.section	.bss,"aw",@nobits
	.globl	__hip_cuid_76b626c63a3ba18c
__hip_cuid_76b626c63a3ba18c:
	.byte	0                               ; 0x0
	.size	__hip_cuid_76b626c63a3ba18c, 1

	.ident	"AMD clang version 19.0.0git (https://github.com/RadeonOpenCompute/llvm-project roc-6.4.0 25133 c7fe45cf4b819c5991fe208aaa96edf142730f1d)"
	.section	".note.GNU-stack","",@progbits
	.addrsig
	.addrsig_sym __hip_cuid_76b626c63a3ba18c
	.amdgpu_metadata
---
amdhsa.kernels:
  - .args:
      - .actual_access:  read_only
        .address_space:  global
        .offset:         0
        .size:           8
        .value_kind:     global_buffer
      - .actual_access:  read_only
        .address_space:  global
        .offset:         8
        .size:           8
        .value_kind:     global_buffer
      - .actual_access:  read_only
        .address_space:  global
        .offset:         16
        .size:           8
        .value_kind:     global_buffer
      - .actual_access:  read_only
        .address_space:  global
        .offset:         24
        .size:           8
        .value_kind:     global_buffer
      - .actual_access:  read_only
        .address_space:  global
        .offset:         32
        .size:           8
        .value_kind:     global_buffer
      - .offset:         40
        .size:           8
        .value_kind:     by_value
      - .address_space:  global
        .offset:         48
        .size:           8
        .value_kind:     global_buffer
      - .address_space:  global
        .offset:         56
        .size:           8
        .value_kind:     global_buffer
      - .address_space:  global
        .offset:         64
        .size:           8
        .value_kind:     global_buffer
      - .address_space:  global
        .offset:         72
        .size:           8
        .value_kind:     global_buffer
      - .offset:         80
        .size:           4
        .value_kind:     by_value
      - .address_space:  global
        .offset:         88
        .size:           8
        .value_kind:     global_buffer
      - .address_space:  global
        .offset:         96
        .size:           8
        .value_kind:     global_buffer
    .group_segment_fixed_size: 12288
    .kernarg_segment_align: 8
    .kernarg_segment_size: 104
    .language:       OpenCL C
    .language_version:
      - 2
      - 0
    .max_flat_workgroup_size: 256
    .name:           bluestein_single_back_len1536_dim1_sp_op_CI_CI
    .private_segment_fixed_size: 0
    .sgpr_count:     20
    .sgpr_spill_count: 0
    .symbol:         bluestein_single_back_len1536_dim1_sp_op_CI_CI.kd
    .uniform_work_group_size: 1
    .uses_dynamic_stack: false
    .vgpr_count:     97
    .vgpr_spill_count: 0
    .wavefront_size: 64
amdhsa.target:   amdgcn-amd-amdhsa--gfx906
amdhsa.version:
  - 1
  - 2
...

	.end_amdgpu_metadata
